;; amdgpu-corpus repo=ROCm/rocFFT kind=compiled arch=gfx906 opt=O3
	.text
	.amdgcn_target "amdgcn-amd-amdhsa--gfx906"
	.amdhsa_code_object_version 6
	.protected	fft_rtc_back_len728_factors_13_7_8_wgs_104_tpt_104_halfLds_sp_op_CI_CI_unitstride_sbrr_R2C_dirReg ; -- Begin function fft_rtc_back_len728_factors_13_7_8_wgs_104_tpt_104_halfLds_sp_op_CI_CI_unitstride_sbrr_R2C_dirReg
	.globl	fft_rtc_back_len728_factors_13_7_8_wgs_104_tpt_104_halfLds_sp_op_CI_CI_unitstride_sbrr_R2C_dirReg
	.p2align	8
	.type	fft_rtc_back_len728_factors_13_7_8_wgs_104_tpt_104_halfLds_sp_op_CI_CI_unitstride_sbrr_R2C_dirReg,@function
fft_rtc_back_len728_factors_13_7_8_wgs_104_tpt_104_halfLds_sp_op_CI_CI_unitstride_sbrr_R2C_dirReg: ; @fft_rtc_back_len728_factors_13_7_8_wgs_104_tpt_104_halfLds_sp_op_CI_CI_unitstride_sbrr_R2C_dirReg
; %bb.0:
	s_load_dwordx4 s[8:11], s[4:5], 0x58
	s_load_dwordx4 s[12:15], s[4:5], 0x0
	;; [unrolled: 1-line block ×3, first 2 shown]
	v_mul_u32_u24_e32 v1, 0x277, v0
	v_add_u32_sdwa v5, s6, v1 dst_sel:DWORD dst_unused:UNUSED_PAD src0_sel:DWORD src1_sel:WORD_1
	v_mov_b32_e32 v3, 0
	s_waitcnt lgkmcnt(0)
	v_cmp_lt_u64_e64 s[0:1], s[14:15], 2
	v_mov_b32_e32 v1, 0
	v_mov_b32_e32 v6, v3
	s_and_b64 vcc, exec, s[0:1]
	v_mov_b32_e32 v2, 0
	s_cbranch_vccnz .LBB0_8
; %bb.1:
	s_load_dwordx2 s[0:1], s[4:5], 0x10
	s_add_u32 s2, s18, 8
	s_addc_u32 s3, s19, 0
	s_add_u32 s6, s16, 8
	v_mov_b32_e32 v1, 0
	s_addc_u32 s7, s17, 0
	v_mov_b32_e32 v2, 0
	s_waitcnt lgkmcnt(0)
	s_add_u32 s20, s0, 8
	v_mov_b32_e32 v29, v2
	s_addc_u32 s21, s1, 0
	s_mov_b64 s[22:23], 1
	v_mov_b32_e32 v28, v1
.LBB0_2:                                ; =>This Inner Loop Header: Depth=1
	s_load_dwordx2 s[24:25], s[20:21], 0x0
                                        ; implicit-def: $vgpr30_vgpr31
	s_waitcnt lgkmcnt(0)
	v_or_b32_e32 v4, s25, v6
	v_cmp_ne_u64_e32 vcc, 0, v[3:4]
	s_and_saveexec_b64 s[0:1], vcc
	s_xor_b64 s[26:27], exec, s[0:1]
	s_cbranch_execz .LBB0_4
; %bb.3:                                ;   in Loop: Header=BB0_2 Depth=1
	v_cvt_f32_u32_e32 v4, s24
	v_cvt_f32_u32_e32 v7, s25
	s_sub_u32 s0, 0, s24
	s_subb_u32 s1, 0, s25
	v_mac_f32_e32 v4, 0x4f800000, v7
	v_rcp_f32_e32 v4, v4
	v_mul_f32_e32 v4, 0x5f7ffffc, v4
	v_mul_f32_e32 v7, 0x2f800000, v4
	v_trunc_f32_e32 v7, v7
	v_mac_f32_e32 v4, 0xcf800000, v7
	v_cvt_u32_f32_e32 v7, v7
	v_cvt_u32_f32_e32 v4, v4
	v_mul_lo_u32 v8, s0, v7
	v_mul_hi_u32 v9, s0, v4
	v_mul_lo_u32 v11, s1, v4
	v_mul_lo_u32 v10, s0, v4
	v_add_u32_e32 v8, v9, v8
	v_add_u32_e32 v8, v8, v11
	v_mul_hi_u32 v9, v4, v10
	v_mul_lo_u32 v11, v4, v8
	v_mul_hi_u32 v13, v4, v8
	v_mul_hi_u32 v12, v7, v10
	v_mul_lo_u32 v10, v7, v10
	v_mul_hi_u32 v14, v7, v8
	v_add_co_u32_e32 v9, vcc, v9, v11
	v_addc_co_u32_e32 v11, vcc, 0, v13, vcc
	v_mul_lo_u32 v8, v7, v8
	v_add_co_u32_e32 v9, vcc, v9, v10
	v_addc_co_u32_e32 v9, vcc, v11, v12, vcc
	v_addc_co_u32_e32 v10, vcc, 0, v14, vcc
	v_add_co_u32_e32 v8, vcc, v9, v8
	v_addc_co_u32_e32 v9, vcc, 0, v10, vcc
	v_add_co_u32_e32 v4, vcc, v4, v8
	v_addc_co_u32_e32 v7, vcc, v7, v9, vcc
	v_mul_lo_u32 v8, s0, v7
	v_mul_hi_u32 v9, s0, v4
	v_mul_lo_u32 v10, s1, v4
	v_mul_lo_u32 v11, s0, v4
	v_add_u32_e32 v8, v9, v8
	v_add_u32_e32 v8, v8, v10
	v_mul_lo_u32 v12, v4, v8
	v_mul_hi_u32 v13, v4, v11
	v_mul_hi_u32 v14, v4, v8
	v_mul_hi_u32 v10, v7, v11
	v_mul_lo_u32 v11, v7, v11
	v_mul_hi_u32 v9, v7, v8
	v_add_co_u32_e32 v12, vcc, v13, v12
	v_addc_co_u32_e32 v13, vcc, 0, v14, vcc
	v_mul_lo_u32 v8, v7, v8
	v_add_co_u32_e32 v11, vcc, v12, v11
	v_addc_co_u32_e32 v10, vcc, v13, v10, vcc
	v_addc_co_u32_e32 v9, vcc, 0, v9, vcc
	v_add_co_u32_e32 v8, vcc, v10, v8
	v_addc_co_u32_e32 v9, vcc, 0, v9, vcc
	v_add_co_u32_e32 v4, vcc, v4, v8
	v_addc_co_u32_e32 v9, vcc, v7, v9, vcc
	v_mad_u64_u32 v[7:8], s[0:1], v5, v9, 0
	v_mul_hi_u32 v10, v5, v4
	v_add_co_u32_e32 v11, vcc, v10, v7
	v_addc_co_u32_e32 v12, vcc, 0, v8, vcc
	v_mad_u64_u32 v[7:8], s[0:1], v6, v4, 0
	v_mad_u64_u32 v[9:10], s[0:1], v6, v9, 0
	v_add_co_u32_e32 v4, vcc, v11, v7
	v_addc_co_u32_e32 v4, vcc, v12, v8, vcc
	v_addc_co_u32_e32 v7, vcc, 0, v10, vcc
	v_add_co_u32_e32 v4, vcc, v4, v9
	v_addc_co_u32_e32 v9, vcc, 0, v7, vcc
	v_mul_lo_u32 v10, s25, v4
	v_mul_lo_u32 v11, s24, v9
	v_mad_u64_u32 v[7:8], s[0:1], s24, v4, 0
	v_add3_u32 v8, v8, v11, v10
	v_sub_u32_e32 v10, v6, v8
	v_mov_b32_e32 v11, s25
	v_sub_co_u32_e32 v7, vcc, v5, v7
	v_subb_co_u32_e64 v10, s[0:1], v10, v11, vcc
	v_subrev_co_u32_e64 v11, s[0:1], s24, v7
	v_subbrev_co_u32_e64 v10, s[0:1], 0, v10, s[0:1]
	v_cmp_le_u32_e64 s[0:1], s25, v10
	v_cndmask_b32_e64 v12, 0, -1, s[0:1]
	v_cmp_le_u32_e64 s[0:1], s24, v11
	v_cndmask_b32_e64 v11, 0, -1, s[0:1]
	v_cmp_eq_u32_e64 s[0:1], s25, v10
	v_cndmask_b32_e64 v10, v12, v11, s[0:1]
	v_add_co_u32_e64 v11, s[0:1], 2, v4
	v_addc_co_u32_e64 v12, s[0:1], 0, v9, s[0:1]
	v_add_co_u32_e64 v13, s[0:1], 1, v4
	v_addc_co_u32_e64 v14, s[0:1], 0, v9, s[0:1]
	v_subb_co_u32_e32 v8, vcc, v6, v8, vcc
	v_cmp_ne_u32_e64 s[0:1], 0, v10
	v_cmp_le_u32_e32 vcc, s25, v8
	v_cndmask_b32_e64 v10, v14, v12, s[0:1]
	v_cndmask_b32_e64 v12, 0, -1, vcc
	v_cmp_le_u32_e32 vcc, s24, v7
	v_cndmask_b32_e64 v7, 0, -1, vcc
	v_cmp_eq_u32_e32 vcc, s25, v8
	v_cndmask_b32_e32 v7, v12, v7, vcc
	v_cmp_ne_u32_e32 vcc, 0, v7
	v_cndmask_b32_e64 v7, v13, v11, s[0:1]
	v_cndmask_b32_e32 v31, v9, v10, vcc
	v_cndmask_b32_e32 v30, v4, v7, vcc
.LBB0_4:                                ;   in Loop: Header=BB0_2 Depth=1
	s_andn2_saveexec_b64 s[0:1], s[26:27]
	s_cbranch_execz .LBB0_6
; %bb.5:                                ;   in Loop: Header=BB0_2 Depth=1
	v_cvt_f32_u32_e32 v4, s24
	s_sub_i32 s26, 0, s24
	v_mov_b32_e32 v31, v3
	v_rcp_iflag_f32_e32 v4, v4
	v_mul_f32_e32 v4, 0x4f7ffffe, v4
	v_cvt_u32_f32_e32 v4, v4
	v_mul_lo_u32 v7, s26, v4
	v_mul_hi_u32 v7, v4, v7
	v_add_u32_e32 v4, v4, v7
	v_mul_hi_u32 v4, v5, v4
	v_mul_lo_u32 v7, v4, s24
	v_add_u32_e32 v8, 1, v4
	v_sub_u32_e32 v7, v5, v7
	v_subrev_u32_e32 v9, s24, v7
	v_cmp_le_u32_e32 vcc, s24, v7
	v_cndmask_b32_e32 v7, v7, v9, vcc
	v_cndmask_b32_e32 v4, v4, v8, vcc
	v_add_u32_e32 v8, 1, v4
	v_cmp_le_u32_e32 vcc, s24, v7
	v_cndmask_b32_e32 v30, v4, v8, vcc
.LBB0_6:                                ;   in Loop: Header=BB0_2 Depth=1
	s_or_b64 exec, exec, s[0:1]
	v_mul_lo_u32 v4, v31, s24
	v_mul_lo_u32 v9, v30, s25
	v_mad_u64_u32 v[7:8], s[0:1], v30, s24, 0
	s_load_dwordx2 s[0:1], s[6:7], 0x0
	s_load_dwordx2 s[24:25], s[2:3], 0x0
	v_add3_u32 v4, v8, v9, v4
	v_sub_co_u32_e32 v5, vcc, v5, v7
	v_subb_co_u32_e32 v4, vcc, v6, v4, vcc
	s_waitcnt lgkmcnt(0)
	v_mul_lo_u32 v6, s0, v4
	v_mul_lo_u32 v7, s1, v5
	v_mad_u64_u32 v[1:2], s[0:1], s0, v5, v[1:2]
	v_mul_lo_u32 v4, s24, v4
	v_mul_lo_u32 v8, s25, v5
	v_mad_u64_u32 v[28:29], s[0:1], s24, v5, v[28:29]
	s_add_u32 s22, s22, 1
	s_addc_u32 s23, s23, 0
	s_add_u32 s2, s2, 8
	v_add3_u32 v29, v8, v29, v4
	s_addc_u32 s3, s3, 0
	v_mov_b32_e32 v4, s14
	s_add_u32 s6, s6, 8
	v_mov_b32_e32 v5, s15
	s_addc_u32 s7, s7, 0
	v_cmp_ge_u64_e32 vcc, s[22:23], v[4:5]
	s_add_u32 s20, s20, 8
	v_add3_u32 v2, v7, v2, v6
	s_addc_u32 s21, s21, 0
	s_cbranch_vccnz .LBB0_9
; %bb.7:                                ;   in Loop: Header=BB0_2 Depth=1
	v_mov_b32_e32 v5, v30
	v_mov_b32_e32 v6, v31
	s_branch .LBB0_2
.LBB0_8:
	v_mov_b32_e32 v29, v2
	v_mov_b32_e32 v31, v6
	;; [unrolled: 1-line block ×4, first 2 shown]
.LBB0_9:
	s_load_dwordx2 s[4:5], s[4:5], 0x28
	s_lshl_b64 s[6:7], s[14:15], 3
	s_add_u32 s2, s18, s6
	s_addc_u32 s3, s19, s7
                                        ; implicit-def: $vgpr32
	s_waitcnt lgkmcnt(0)
	v_cmp_gt_u64_e64 s[0:1], s[4:5], v[30:31]
	v_cmp_le_u64_e32 vcc, s[4:5], v[30:31]
	s_and_saveexec_b64 s[4:5], vcc
	s_xor_b64 s[4:5], exec, s[4:5]
; %bb.10:
	s_mov_b32 s14, 0x2762763
	v_mul_hi_u32 v1, v0, s14
	v_mul_u32_u24_e32 v1, 0x68, v1
	v_sub_u32_e32 v32, v0, v1
                                        ; implicit-def: $vgpr0
                                        ; implicit-def: $vgpr1_vgpr2
; %bb.11:
	s_andn2_saveexec_b64 s[4:5], s[4:5]
	s_cbranch_execz .LBB0_13
; %bb.12:
	s_add_u32 s6, s16, s6
	s_addc_u32 s7, s17, s7
	s_load_dwordx2 s[6:7], s[6:7], 0x0
	s_mov_b32 s14, 0x2762763
	v_mul_hi_u32 v5, v0, s14
	s_waitcnt lgkmcnt(0)
	v_mul_lo_u32 v6, s7, v30
	v_mul_lo_u32 v7, s6, v31
	v_mad_u64_u32 v[3:4], s[6:7], s6, v30, 0
	v_mul_u32_u24_e32 v5, 0x68, v5
	v_sub_u32_e32 v32, v0, v5
	v_add3_u32 v4, v4, v7, v6
	v_lshlrev_b64 v[3:4], 3, v[3:4]
	v_mov_b32_e32 v0, s9
	v_add_co_u32_e32 v3, vcc, s8, v3
	v_addc_co_u32_e32 v4, vcc, v0, v4, vcc
	v_lshlrev_b64 v[0:1], 3, v[1:2]
	v_lshlrev_b32_e32 v18, 3, v32
	v_add_co_u32_e32 v0, vcc, v3, v0
	v_addc_co_u32_e32 v1, vcc, v4, v1, vcc
	v_add_co_u32_e32 v0, vcc, v0, v18
	v_addc_co_u32_e32 v1, vcc, 0, v1, vcc
	v_add_co_u32_e32 v10, vcc, 0x1000, v0
	global_load_dwordx2 v[2:3], v[0:1], off
	global_load_dwordx2 v[4:5], v[0:1], off offset:832
	global_load_dwordx2 v[6:7], v[0:1], off offset:1664
	;; [unrolled: 1-line block ×3, first 2 shown]
	v_addc_co_u32_e32 v11, vcc, 0, v1, vcc
	global_load_dwordx2 v[12:13], v[0:1], off offset:3328
	global_load_dwordx2 v[14:15], v[10:11], off offset:64
	global_load_dwordx2 v[16:17], v[10:11], off offset:896
	v_add_u32_e32 v0, 0, v18
	v_add_u32_e32 v1, 0x400, v0
	;; [unrolled: 1-line block ×3, first 2 shown]
	s_waitcnt vmcnt(5)
	ds_write2_b64 v0, v[2:3], v[4:5] offset1:104
	s_waitcnt vmcnt(3)
	ds_write2_b64 v1, v[6:7], v[8:9] offset0:80 offset1:184
	s_waitcnt vmcnt(1)
	ds_write2_b64 v10, v[12:13], v[14:15] offset0:32 offset1:136
	s_waitcnt vmcnt(0)
	ds_write_b64 v0, v[16:17] offset:4992
.LBB0_13:
	s_or_b64 exec, exec, s[4:5]
	v_lshl_add_u32 v37, v32, 3, 0
	v_add_u32_e32 v0, 0x1000, v37
	s_waitcnt lgkmcnt(0)
	s_barrier
	ds_read2_b64 v[4:7], v37 offset1:56
	ds_read_b64 v[35:36], v37 offset:5376
	ds_read2_b64 v[16:19], v37 offset0:112 offset1:168
	ds_read2_b64 v[8:11], v0 offset0:48 offset1:104
	s_mov_b32 s6, 0xbf788fa5
	s_mov_b32 s7, 0x3f62ad3f
	s_waitcnt lgkmcnt(2)
	v_sub_f32_e32 v51, v7, v36
	v_add_f32_e32 v39, v35, v6
	v_mul_f32_e32 v0, 0xbe750f2a, v51
	s_waitcnt lgkmcnt(0)
	v_sub_f32_e32 v52, v17, v11
	v_add_f32_e32 v53, v36, v7
	v_fma_f32 v2, v39, s6, -v0
	v_add_f32_e32 v40, v10, v16
	v_mul_f32_e32 v33, 0x3eedf032, v52
	v_mul_f32_e32 v1, 0xbf788fa5, v53
	v_add_f32_e32 v2, v4, v2
	v_fma_f32 v3, v40, s7, -v33
	v_add_f32_e32 v55, v11, v17
	v_sub_f32_e32 v41, v6, v35
	v_add_f32_e32 v2, v3, v2
	v_mov_b32_e32 v3, v1
	v_mul_f32_e32 v63, 0x3f62ad3f, v55
	v_fmac_f32_e32 v3, 0xbe750f2a, v41
	v_sub_f32_e32 v43, v16, v10
	v_mov_b32_e32 v12, v63
	v_sub_f32_e32 v54, v19, v9
	v_add_f32_e32 v3, v5, v3
	v_fmac_f32_e32 v12, 0x3eedf032, v43
	s_mov_b32 s8, 0xbf3f9e67
	v_add_f32_e32 v42, v8, v18
	v_mul_f32_e32 v34, 0xbf29c268, v54
	v_add_f32_e32 v3, v12, v3
	v_fma_f32 v12, v42, s8, -v34
	v_add_u32_e32 v38, 0x400, v37
	v_add_f32_e32 v2, v12, v2
	v_add_u32_e32 v24, 0x800, v37
	ds_read2_b64 v[20:23], v38 offset0:96 offset1:152
	ds_read2_b64 v[12:15], v24 offset0:192 offset1:248
	v_add_f32_e32 v57, v9, v19
	v_mul_f32_e32 v64, 0xbf3f9e67, v57
	v_sub_f32_e32 v44, v18, v8
	v_mov_b32_e32 v25, v64
	s_waitcnt lgkmcnt(0)
	v_sub_f32_e32 v56, v21, v15
	v_fmac_f32_e32 v25, 0xbf29c268, v44
	s_mov_b32 s9, 0x3f116cb1
	v_add_f32_e32 v45, v14, v20
	v_mul_f32_e32 v65, 0x3f52af12, v56
	v_add_f32_e32 v59, v15, v21
	v_add_f32_e32 v3, v25, v3
	v_fma_f32 v25, v45, s9, -v65
	v_mul_f32_e32 v67, 0x3f116cb1, v59
	v_add_f32_e32 v2, v25, v2
	v_sub_f32_e32 v47, v20, v14
	v_mov_b32_e32 v25, v67
	v_sub_f32_e32 v58, v23, v13
	v_fmac_f32_e32 v25, 0x3f52af12, v47
	s_mov_b32 s14, 0xbeb58ec6
	v_add_f32_e32 v46, v12, v22
	v_mul_f32_e32 v66, 0xbf6f5d39, v58
	v_add_f32_e32 v3, v25, v3
	v_fma_f32 v25, v46, s14, -v66
	v_add_f32_e32 v2, v25, v2
	ds_read2_b64 v[24:27], v24 offset0:80 offset1:136
	v_add_f32_e32 v62, v13, v23
	v_mul_f32_e32 v68, 0xbeb58ec6, v62
	v_sub_f32_e32 v48, v22, v12
	v_mov_b32_e32 v49, v68
	s_waitcnt lgkmcnt(0)
	v_add_f32_e32 v60, v27, v25
	v_fmac_f32_e32 v49, 0xbf6f5d39, v48
	v_mul_f32_e32 v70, 0x3df6dbef, v60
	v_sub_f32_e32 v61, v25, v27
	v_add_f32_e32 v3, v49, v3
	s_mov_b32 s15, 0x3df6dbef
	v_sub_f32_e32 v50, v24, v26
	v_mov_b32_e32 v71, v70
	v_add_f32_e32 v49, v26, v24
	v_mul_f32_e32 v69, 0x3f7e222b, v61
	v_fmac_f32_e32 v71, 0x3f7e222b, v50
	v_fma_f32 v72, v49, s15, -v69
	v_add_f32_e32 v2, v72, v2
	v_add_f32_e32 v3, v71, v3
	v_cmp_gt_u32_e32 vcc, 56, v32
	s_barrier
	s_and_saveexec_b64 s[4:5], vcc
	s_cbranch_execz .LBB0_15
; %bb.14:
	v_mul_f32_e32 v71, 0xbf788fa5, v39
	v_mul_f32_e32 v72, 0xbe750f2a, v41
	;; [unrolled: 1-line block ×4, first 2 shown]
	v_sub_f32_e32 v1, v1, v72
	v_add_f32_e32 v0, v71, v0
	v_mul_f32_e32 v72, 0xbf3f9e67, v42
	v_sub_f32_e32 v63, v63, v74
	v_mul_f32_e32 v74, 0xbf29c268, v44
	v_add_f32_e32 v1, v5, v1
	v_add_f32_e32 v0, v4, v0
	;; [unrolled: 1-line block ×4, first 2 shown]
	v_mul_f32_e32 v63, 0x3f116cb1, v45
	v_sub_f32_e32 v64, v64, v74
	v_mul_f32_e32 v74, 0x3f52af12, v47
	v_add_f32_e32 v0, v33, v0
	v_add_f32_e32 v33, v72, v34
	;; [unrolled: 1-line block ×3, first 2 shown]
	v_mul_f32_e32 v64, 0xbeb58ec6, v46
	v_sub_f32_e32 v67, v67, v74
	v_add_f32_e32 v0, v33, v0
	v_add_f32_e32 v33, v63, v65
	;; [unrolled: 1-line block ×3, first 2 shown]
	v_mul_f32_e32 v67, 0x3df6dbef, v49
	v_add_f32_e32 v0, v33, v0
	v_add_f32_e32 v33, v64, v66
	;; [unrolled: 1-line block ×4, first 2 shown]
	v_mul_f32_e32 v64, 0xbf3f9e67, v53
	v_add_f32_e32 v0, v33, v0
	v_mov_b32_e32 v33, v64
	v_mul_f32_e32 v65, 0x3df6dbef, v55
	v_fmac_f32_e32 v33, 0x3f29c268, v41
	v_mov_b32_e32 v34, v65
	v_add_f32_e32 v6, v4, v6
	v_add_f32_e32 v33, v5, v33
	v_fmac_f32_e32 v34, 0xbf7e222b, v43
	v_mul_f32_e32 v66, 0x3f116cb1, v57
	v_add_f32_e32 v7, v5, v7
	v_add_f32_e32 v6, v6, v16
	v_mul_f32_e32 v74, 0xbf6f5d39, v48
	v_add_f32_e32 v33, v34, v33
	v_mov_b32_e32 v34, v66
	v_add_f32_e32 v7, v7, v17
	v_add_f32_e32 v6, v6, v18
	v_sub_f32_e32 v68, v68, v74
	v_mul_f32_e32 v74, 0x3f7e222b, v50
	v_fmac_f32_e32 v34, 0x3f52af12, v44
	v_mul_f32_e32 v67, 0xbf788fa5, v59
	v_add_f32_e32 v7, v7, v19
	v_add_f32_e32 v6, v6, v20
	;; [unrolled: 1-line block ×3, first 2 shown]
	v_sub_f32_e32 v68, v70, v74
	v_add_f32_e32 v33, v34, v33
	v_mov_b32_e32 v34, v67
	v_add_f32_e32 v7, v7, v21
	v_add_f32_e32 v6, v6, v22
	;; [unrolled: 1-line block ×3, first 2 shown]
	v_fmac_f32_e32 v34, 0xbe750f2a, v47
	v_mul_f32_e32 v68, 0x3f62ad3f, v62
	v_add_f32_e32 v7, v7, v23
	v_add_f32_e32 v6, v6, v24
	;; [unrolled: 1-line block ×3, first 2 shown]
	v_mov_b32_e32 v34, v68
	v_add_f32_e32 v7, v7, v25
	v_add_f32_e32 v6, v6, v26
	v_fmac_f32_e32 v34, 0xbeedf032, v48
	v_mul_f32_e32 v63, 0xbeb58ec6, v60
	v_add_f32_e32 v7, v7, v27
	v_add_f32_e32 v6, v6, v12
	;; [unrolled: 1-line block ×3, first 2 shown]
	v_mov_b32_e32 v34, v63
	v_add_f32_e32 v7, v7, v13
	v_add_f32_e32 v12, v6, v14
	v_fmac_f32_e32 v34, 0x3f6f5d39, v50
	v_mul_f32_e32 v69, 0xbf29c268, v51
	v_add_f32_e32 v13, v7, v15
	v_add_f32_e32 v8, v12, v8
	v_mul_f32_e32 v76, 0x3df6dbef, v53
	v_add_f32_e32 v34, v34, v33
	v_mov_b32_e32 v33, v69
	v_mul_f32_e32 v70, 0x3f7e222b, v52
	v_add_f32_e32 v9, v13, v9
	v_add_f32_e32 v8, v8, v10
	v_mov_b32_e32 v10, v76
	v_mul_f32_e32 v77, 0xbf788fa5, v55
	v_fmac_f32_e32 v33, 0xbf3f9e67, v39
	v_mov_b32_e32 v71, v70
	v_add_f32_e32 v9, v9, v11
	v_fmac_f32_e32 v10, 0x3f7e222b, v41
	v_mov_b32_e32 v11, v77
	v_add_f32_e32 v33, v4, v33
	v_fmac_f32_e32 v71, 0x3df6dbef, v40
	v_add_f32_e32 v10, v5, v10
	v_fmac_f32_e32 v11, 0x3e750f2a, v43
	v_add_f32_e32 v8, v8, v35
	v_mul_f32_e32 v35, 0xbeb58ec6, v57
	v_add_f32_e32 v33, v71, v33
	v_mul_f32_e32 v71, 0xbf52af12, v54
	v_add_f32_e32 v10, v11, v10
	v_mov_b32_e32 v11, v35
	v_mov_b32_e32 v72, v71
	v_mul_f32_e32 v16, 0x3e750f2a, v56
	v_add_f32_e32 v9, v9, v36
	v_fmac_f32_e32 v11, 0xbf6f5d39, v44
	v_mul_f32_e32 v36, 0x3f62ad3f, v59
	v_fmac_f32_e32 v72, 0x3f116cb1, v42
	v_mov_b32_e32 v17, v16
	v_mul_f32_e32 v18, 0x3eedf032, v58
	v_add_f32_e32 v10, v11, v10
	v_mov_b32_e32 v11, v36
	v_add_f32_e32 v33, v72, v33
	v_fmac_f32_e32 v17, 0xbf788fa5, v45
	v_mov_b32_e32 v19, v18
	v_fmac_f32_e32 v11, 0xbeedf032, v47
	v_mul_f32_e32 v78, 0x3f116cb1, v62
	v_add_f32_e32 v17, v17, v33
	v_fmac_f32_e32 v19, 0x3f62ad3f, v46
	v_add_f32_e32 v10, v11, v10
	v_mov_b32_e32 v11, v78
	v_add_f32_e32 v17, v19, v17
	v_mul_f32_e32 v19, 0xbf6f5d39, v61
	v_fmac_f32_e32 v11, 0x3f52af12, v48
	v_mul_f32_e32 v79, 0xbf7e222b, v51
	v_mov_b32_e32 v33, v19
	v_add_f32_e32 v10, v11, v10
	v_mov_b32_e32 v11, v79
	v_mul_f32_e32 v80, 0xbe750f2a, v52
	v_fmac_f32_e32 v33, 0xbeb58ec6, v49
	v_mul_f32_e32 v72, 0xbeb58ec6, v53
	v_fmac_f32_e32 v11, 0x3df6dbef, v39
	v_mov_b32_e32 v12, v80
	v_add_f32_e32 v33, v33, v17
	v_mov_b32_e32 v17, v72
	v_mul_f32_e32 v20, 0xbf3f9e67, v55
	v_add_f32_e32 v11, v4, v11
	v_fmac_f32_e32 v12, 0xbf788fa5, v40
	v_mul_f32_e32 v81, 0x3f6f5d39, v54
	v_fmac_f32_e32 v17, 0x3f6f5d39, v41
	v_mov_b32_e32 v21, v20
	v_add_f32_e32 v11, v12, v11
	v_mov_b32_e32 v12, v81
	v_add_f32_e32 v17, v5, v17
	v_fmac_f32_e32 v21, 0xbf29c268, v43
	v_fmac_f32_e32 v12, 0xbeb58ec6, v42
	v_mul_f32_e32 v82, 0x3eedf032, v56
	v_add_f32_e32 v17, v21, v17
	v_mul_f32_e32 v21, 0x3f62ad3f, v57
	v_add_f32_e32 v11, v12, v11
	v_mov_b32_e32 v12, v82
	v_mov_b32_e32 v22, v21
	v_fmac_f32_e32 v12, 0x3f62ad3f, v45
	v_mul_f32_e32 v83, 0xbf52af12, v58
	v_fmac_f32_e32 v22, 0xbeedf032, v44
	v_add_f32_e32 v11, v12, v11
	v_mov_b32_e32 v12, v83
	v_add_f32_e32 v17, v22, v17
	v_mul_f32_e32 v22, 0x3df6dbef, v59
	v_fmac_f32_e32 v12, 0x3f116cb1, v46
	v_mul_f32_e32 v84, 0xbf3f9e67, v60
	v_mov_b32_e32 v23, v22
	v_add_f32_e32 v12, v12, v11
	v_mov_b32_e32 v11, v84
	v_fmac_f32_e32 v23, 0x3f7e222b, v47
	v_fmac_f32_e32 v11, 0x3f29c268, v50
	v_mul_f32_e32 v85, 0xbf29c268, v61
	v_add_f32_e32 v17, v23, v17
	v_mul_f32_e32 v23, 0xbf788fa5, v62
	v_add_f32_e32 v11, v11, v10
	v_mov_b32_e32 v10, v85
	v_mov_b32_e32 v73, v23
	v_mul_f32_e32 v24, 0xbf6f5d39, v51
	v_fmac_f32_e32 v10, 0xbf3f9e67, v49
	v_mul_f32_e32 v86, 0x3f116cb1, v53
	v_fmac_f32_e32 v73, 0xbe750f2a, v48
	v_mov_b32_e32 v25, v24
	v_mul_f32_e32 v26, 0x3f29c268, v52
	v_add_f32_e32 v10, v10, v12
	v_mov_b32_e32 v12, v86
	v_mul_f32_e32 v87, 0xbeb58ec6, v55
	v_add_f32_e32 v17, v73, v17
	v_fmac_f32_e32 v25, 0xbeb58ec6, v39
	v_mov_b32_e32 v27, v26
	v_mul_f32_e32 v73, 0x3eedf032, v54
	v_fmac_f32_e32 v12, 0x3f52af12, v41
	v_mov_b32_e32 v13, v87
	v_add_f32_e32 v25, v4, v25
	v_fmac_f32_e32 v27, 0xbf3f9e67, v40
	v_mov_b32_e32 v6, v73
	v_add_f32_e32 v12, v5, v12
	v_fmac_f32_e32 v13, 0x3f6f5d39, v43
	v_mul_f32_e32 v88, 0xbf788fa5, v57
	v_add_f32_e32 v25, v27, v25
	v_fmac_f32_e32 v6, 0x3f62ad3f, v42
	v_add_f32_e32 v12, v13, v12
	v_mov_b32_e32 v13, v88
	v_add_f32_e32 v6, v6, v25
	v_mul_f32_e32 v25, 0xbf7e222b, v56
	v_fmac_f32_e32 v13, 0x3e750f2a, v44
	v_mul_f32_e32 v89, 0xbf3f9e67, v59
	v_mov_b32_e32 v7, v25
	v_add_f32_e32 v12, v13, v12
	v_mov_b32_e32 v13, v89
	v_fmac_f32_e32 v7, 0x3df6dbef, v45
	v_mul_f32_e32 v74, 0x3e750f2a, v58
	v_fmac_f32_e32 v13, 0xbf29c268, v47
	v_mul_f32_e32 v90, 0x3df6dbef, v62
	v_add_f32_e32 v6, v7, v6
	v_mov_b32_e32 v7, v74
	v_mul_f32_e32 v75, 0x3f52af12, v61
	v_add_f32_e32 v12, v13, v12
	v_mov_b32_e32 v13, v90
	v_fmac_f32_e32 v7, 0xbf788fa5, v46
	v_mov_b32_e32 v14, v75
	v_fmac_f32_e32 v13, 0xbf7e222b, v48
	v_mul_f32_e32 v91, 0xbf52af12, v51
	v_add_f32_e32 v6, v7, v6
	v_fmac_f32_e32 v14, 0x3f116cb1, v49
	v_add_f32_e32 v12, v13, v12
	v_mov_b32_e32 v13, v91
	v_mul_f32_e32 v92, 0xbf6f5d39, v52
	v_add_f32_e32 v6, v14, v6
	v_fmac_f32_e32 v13, 0x3f116cb1, v39
	v_mov_b32_e32 v14, v92
	v_add_f32_e32 v13, v4, v13
	v_fmac_f32_e32 v14, 0xbeb58ec6, v40
	v_mul_f32_e32 v93, 0xbe750f2a, v54
	v_add_f32_e32 v13, v14, v13
	v_mov_b32_e32 v14, v93
	v_fmac_f32_e32 v14, 0xbf788fa5, v42
	v_mul_f32_e32 v94, 0x3f29c268, v56
	v_add_f32_e32 v13, v14, v13
	v_mov_b32_e32 v14, v94
	;; [unrolled: 4-line block ×6, first 2 shown]
	v_mul_f32_e32 v55, 0x3f116cb1, v55
	v_fmac_f32_e32 v14, 0x3eedf032, v41
	v_mov_b32_e32 v15, v55
	v_add_f32_e32 v14, v5, v14
	v_fmac_f32_e32 v15, 0x3f52af12, v43
	v_mul_f32_e32 v57, 0x3df6dbef, v57
	v_add_f32_e32 v14, v15, v14
	v_mov_b32_e32 v15, v57
	v_fmac_f32_e32 v15, 0x3f7e222b, v44
	v_mul_f32_e32 v59, 0xbeb58ec6, v59
	v_add_f32_e32 v14, v15, v14
	v_mov_b32_e32 v15, v59
	v_fmac_f32_e32 v15, 0x3f6f5d39, v47
	v_mul_f32_e32 v62, 0xbf3f9e67, v62
	v_mul_f32_e32 v27, 0x3f116cb1, v60
	v_add_f32_e32 v14, v15, v14
	v_mov_b32_e32 v15, v62
	v_mov_b32_e32 v7, v27
	v_fmac_f32_e32 v15, 0x3f29c268, v48
	v_mul_f32_e32 v51, 0xbeedf032, v51
	v_fmac_f32_e32 v7, 0xbf52af12, v50
	v_add_f32_e32 v14, v15, v14
	v_mov_b32_e32 v15, v51
	v_mul_f32_e32 v52, 0xbf52af12, v52
	v_add_f32_e32 v7, v7, v17
	v_fmac_f32_e32 v15, 0x3f62ad3f, v39
	v_mov_b32_e32 v17, v52
	v_add_f32_e32 v15, v4, v15
	v_fmac_f32_e32 v17, 0x3f116cb1, v40
	v_mul_f32_e32 v54, 0xbf7e222b, v54
	v_add_f32_e32 v15, v17, v15
	v_mov_b32_e32 v17, v54
	v_fmac_f32_e32 v17, 0x3df6dbef, v42
	v_mul_f32_e32 v56, 0xbf6f5d39, v56
	v_add_f32_e32 v15, v17, v15
	v_mov_b32_e32 v17, v56
	;; [unrolled: 4-line block ×5, first 2 shown]
	v_fmac_f32_e32 v14, 0xbf788fa5, v49
	v_fmac_f32_e32 v64, 0xbf29c268, v41
	v_add_f32_e32 v14, v14, v17
	v_add_f32_e32 v17, v5, v64
	v_fmac_f32_e32 v65, 0x3f7e222b, v43
	v_fma_f32 v64, v39, s8, -v69
	v_add_f32_e32 v17, v65, v17
	v_add_f32_e32 v64, v4, v64
	v_fma_f32 v65, v40, s15, -v70
	v_add_f32_e32 v64, v65, v64
	v_fma_f32 v65, v42, s9, -v71
	v_add_f32_e32 v64, v65, v64
	v_fma_f32 v16, v45, s6, -v16
	v_add_f32_e32 v16, v16, v64
	v_fma_f32 v18, v46, s7, -v18
	v_add_f32_e32 v16, v18, v16
	v_fma_f32 v18, v49, s14, -v19
	v_fmac_f32_e32 v72, 0xbf6f5d39, v41
	v_add_f32_e32 v16, v18, v16
	v_add_f32_e32 v18, v5, v72
	v_fmac_f32_e32 v20, 0x3f29c268, v43
	v_fma_f32 v19, v39, s14, -v24
	v_add_f32_e32 v18, v20, v18
	v_fmac_f32_e32 v21, 0x3eedf032, v44
	v_add_f32_e32 v19, v4, v19
	v_fma_f32 v20, v40, s8, -v26
	v_add_f32_e32 v18, v21, v18
	v_fmac_f32_e32 v22, 0xbf7e222b, v47
	v_add_f32_e32 v19, v20, v19
	;; [unrolled: 4-line block ×3, first 2 shown]
	v_fma_f32 v20, v45, s15, -v25
	v_add_f32_e32 v18, v23, v18
	v_add_f32_e32 v19, v20, v19
	v_fma_f32 v20, v46, s6, -v74
	v_fmac_f32_e32 v27, 0x3f52af12, v50
	v_add_f32_e32 v20, v20, v19
	v_add_f32_e32 v19, v27, v18
	v_fma_f32 v18, v49, s9, -v75
	v_fmac_f32_e32 v76, 0xbf7e222b, v41
	v_add_f32_e32 v18, v18, v20
	v_add_f32_e32 v20, v5, v76
	v_fmac_f32_e32 v77, 0xbe750f2a, v43
	v_add_f32_e32 v20, v77, v20
	v_fmac_f32_e32 v35, 0x3f6f5d39, v44
	;; [unrolled: 2-line block ×5, first 2 shown]
	v_add_f32_e32 v21, v84, v20
	v_fma_f32 v20, v39, s15, -v79
	v_add_f32_e32 v20, v4, v20
	v_fma_f32 v22, v40, s6, -v80
	;; [unrolled: 2-line block ×6, first 2 shown]
	v_fmac_f32_e32 v86, 0xbf52af12, v41
	v_add_f32_e32 v20, v22, v20
	v_add_f32_e32 v22, v5, v86
	v_fmac_f32_e32 v87, 0xbf6f5d39, v43
	v_add_f32_e32 v22, v87, v22
	v_fmac_f32_e32 v88, 0xbe750f2a, v44
	;; [unrolled: 2-line block ×5, first 2 shown]
	v_add_f32_e32 v23, v96, v22
	v_fma_f32 v22, v39, s9, -v91
	v_add_f32_e32 v22, v4, v22
	v_fma_f32 v24, v40, s14, -v92
	;; [unrolled: 2-line block ×7, first 2 shown]
	v_fmac_f32_e32 v53, 0xbeedf032, v41
	v_add_f32_e32 v4, v4, v24
	v_fma_f32 v24, v40, s9, -v52
	v_add_f32_e32 v5, v5, v53
	v_fmac_f32_e32 v55, 0xbf52af12, v43
	v_add_f32_e32 v4, v24, v4
	v_fma_f32 v24, v42, s15, -v54
	v_fmac_f32_e32 v66, 0xbf52af12, v44
	v_add_f32_e32 v5, v55, v5
	v_fmac_f32_e32 v57, 0xbf7e222b, v44
	v_add_f32_e32 v4, v24, v4
	v_fma_f32 v24, v45, s14, -v56
	v_add_f32_e32 v17, v66, v17
	v_fmac_f32_e32 v67, 0x3e750f2a, v47
	v_add_f32_e32 v5, v57, v5
	v_fmac_f32_e32 v59, 0xbf6f5d39, v47
	v_add_f32_e32 v4, v24, v4
	v_fma_f32 v24, v46, s8, -v58
	v_add_f32_e32 v17, v67, v17
	v_fmac_f32_e32 v68, 0x3eedf032, v48
	v_add_f32_e32 v5, v59, v5
	v_fmac_f32_e32 v62, 0xbf29c268, v48
	v_add_f32_e32 v4, v24, v4
	v_fma_f32 v24, v49, s6, -v61
	s_movk_i32 s6, 0x60
	v_add_f32_e32 v17, v68, v17
	v_fmac_f32_e32 v63, 0xbf6f5d39, v50
	v_add_f32_e32 v5, v62, v5
	v_fmac_f32_e32 v60, 0xbe750f2a, v50
	v_add_f32_e32 v4, v24, v4
	v_mad_u32_u24 v24, v32, s6, v37
	v_add_f32_e32 v17, v63, v17
	v_add_f32_e32 v5, v60, v5
	ds_write2_b64 v24, v[8:9], v[14:15] offset1:1
	ds_write2_b64 v24, v[12:13], v[10:11] offset0:2 offset1:3
	ds_write2_b64 v24, v[6:7], v[33:34] offset0:4 offset1:5
	;; [unrolled: 1-line block ×5, first 2 shown]
	ds_write_b64 v24, v[4:5] offset:96
.LBB0_15:
	s_or_b64 exec, exec, s[4:5]
	s_movk_i32 s4, 0x4f
	v_mul_lo_u16_sdwa v0, v32, s4 dst_sel:DWORD dst_unused:UNUSED_PAD src0_sel:BYTE_0 src1_sel:DWORD
	v_lshrrev_b16_e32 v33, 10, v0
	v_mul_lo_u16_e32 v0, 13, v33
	v_sub_u16_e32 v34, v32, v0
	v_mov_b32_e32 v0, 6
	v_mul_u32_u24_sdwa v0, v34, v0 dst_sel:DWORD dst_unused:UNUSED_PAD src0_sel:BYTE_0 src1_sel:DWORD
	v_lshlrev_b32_e32 v0, 3, v0
	s_load_dwordx2 s[2:3], s[2:3], 0x0
	s_waitcnt lgkmcnt(0)
	s_barrier
	global_load_dwordx4 v[4:7], v0, s[12:13]
	global_load_dwordx4 v[8:11], v0, s[12:13] offset:16
	global_load_dwordx4 v[12:15], v0, s[12:13] offset:32
	v_add_u32_e32 v24, 0xc00, v37
	ds_read2_b64 v[16:19], v37 offset1:104
	ds_read2_b64 v[20:23], v38 offset0:80 offset1:184
	ds_read_b64 v[0:1], v37 offset:4992
	ds_read2_b64 v[24:27], v24 offset0:32 offset1:136
	s_mov_b32 s4, 0xbf5ff5aa
	s_mov_b32 s5, 0x3f3bfb3b
	;; [unrolled: 1-line block ×3, first 2 shown]
	s_waitcnt vmcnt(0) lgkmcnt(0)
	s_barrier
	v_mul_f32_e32 v35, v5, v19
	v_mul_f32_e32 v5, v5, v18
	;; [unrolled: 1-line block ×12, first 2 shown]
	v_fmac_f32_e32 v35, v4, v18
	v_fma_f32 v4, v4, v19, -v5
	v_fmac_f32_e32 v36, v6, v20
	v_fmac_f32_e32 v40, v12, v26
	;; [unrolled: 1-line block ×3, first 2 shown]
	v_fma_f32 v0, v14, v1, -v15
	v_fma_f32 v5, v6, v21, -v7
	v_fmac_f32_e32 v38, v8, v22
	v_fma_f32 v6, v8, v23, -v9
	v_fmac_f32_e32 v39, v10, v24
	v_fma_f32 v7, v10, v25, -v11
	v_fma_f32 v8, v12, v27, -v13
	v_add_f32_e32 v1, v35, v41
	v_add_f32_e32 v9, v4, v0
	v_sub_f32_e32 v0, v4, v0
	v_add_f32_e32 v4, v36, v40
	v_add_f32_e32 v11, v5, v8
	v_sub_f32_e32 v12, v36, v40
	v_sub_f32_e32 v5, v5, v8
	v_add_f32_e32 v8, v38, v39
	v_add_f32_e32 v13, v6, v7
	v_sub_f32_e32 v14, v39, v38
	v_sub_f32_e32 v6, v7, v6
	v_add_f32_e32 v7, v4, v1
	v_sub_f32_e32 v10, v35, v41
	v_add_f32_e32 v15, v11, v9
	v_sub_f32_e32 v18, v4, v1
	v_sub_f32_e32 v20, v8, v4
	v_add_f32_e32 v4, v14, v12
	v_add_f32_e32 v7, v8, v7
	v_sub_f32_e32 v1, v1, v8
	v_add_f32_e32 v21, v6, v5
	v_sub_f32_e32 v22, v14, v12
	v_sub_f32_e32 v23, v6, v5
	;; [unrolled: 1-line block ×4, first 2 shown]
	v_add_f32_e32 v8, v13, v15
	v_add_f32_e32 v10, v4, v10
	v_add_f32_e32 v4, v7, v16
	v_sub_f32_e32 v19, v11, v9
	v_sub_f32_e32 v9, v9, v13
	;; [unrolled: 1-line block ×5, first 2 shown]
	v_add_f32_e32 v0, v21, v0
	v_mul_f32_e32 v1, 0x3f4a47b2, v1
	v_mul_f32_e32 v13, 0x3d64c772, v20
	;; [unrolled: 1-line block ×4, first 2 shown]
	v_add_f32_e32 v5, v8, v17
	v_mov_b32_e32 v16, v4
	v_mul_f32_e32 v9, 0x3f4a47b2, v9
	v_mul_f32_e32 v15, 0x3d64c772, v11
	;; [unrolled: 1-line block ×3, first 2 shown]
	v_fma_f32 v13, v18, s5, -v13
	v_mov_b32_e32 v17, v5
	v_fmac_f32_e32 v16, 0xbf955555, v7
	v_fma_f32 v7, v18, s6, -v1
	v_fma_f32 v18, v12, s4, -v21
	;; [unrolled: 1-line block ×3, first 2 shown]
	s_mov_b32 s4, 0x3eae86e6
	v_mul_f32_e32 v25, 0xbf5ff5aa, v24
	v_fma_f32 v15, v19, s5, -v15
	v_fmac_f32_e32 v17, 0xbf955555, v8
	v_fma_f32 v8, v19, s6, -v9
	v_fmac_f32_e32 v9, 0x3d64c772, v11
	;; [unrolled: 2-line block ×3, first 2 shown]
	v_fmac_f32_e32 v21, 0xbeae86e6, v14
	v_fma_f32 v14, v6, s4, -v25
	v_add_f32_e32 v20, v9, v17
	v_add_f32_e32 v13, v13, v16
	;; [unrolled: 1-line block ×4, first 2 shown]
	v_fmac_f32_e32 v18, 0xbee1c552, v10
	v_fmac_f32_e32 v12, 0xbee1c552, v0
	;; [unrolled: 1-line block ×4, first 2 shown]
	v_add_f32_e32 v1, v1, v16
	v_add_f32_e32 v16, v7, v16
	v_fmac_f32_e32 v21, 0xbee1c552, v10
	v_fmac_f32_e32 v14, 0xbee1c552, v0
	v_sub_f32_e32 v9, v17, v19
	v_sub_f32_e32 v10, v13, v12
	v_add_f32_e32 v11, v18, v15
	v_add_f32_e32 v12, v12, v13
	v_sub_f32_e32 v13, v15, v18
	v_add_f32_e32 v15, v19, v17
	v_mov_b32_e32 v17, 3
	v_fmac_f32_e32 v22, 0xbee1c552, v0
	v_add_f32_e32 v8, v14, v16
	v_sub_f32_e32 v14, v16, v14
	v_mul_u32_u24_e32 v16, 0x2d8, v33
	v_lshlrev_b32_sdwa v17, v17, v34 dst_sel:DWORD dst_unused:UNUSED_PAD src0_sel:DWORD src1_sel:BYTE_0
	s_movk_i32 s4, 0x5b
	v_add_f32_e32 v6, v22, v1
	v_sub_f32_e32 v7, v20, v21
	v_sub_f32_e32 v0, v1, v22
	v_add_f32_e32 v1, v21, v20
	v_add3_u32 v16, 0, v16, v17
	v_cmp_gt_u32_e32 vcc, s4, v32
	ds_write2_b64 v16, v[4:5], v[6:7] offset1:13
	ds_write2_b64 v16, v[8:9], v[10:11] offset0:26 offset1:39
	ds_write2_b64 v16, v[12:13], v[14:15] offset0:52 offset1:65
	ds_write_b64 v16, v[0:1] offset:624
	s_waitcnt lgkmcnt(0)
	s_barrier
	s_and_saveexec_b64 s[4:5], vcc
	s_cbranch_execz .LBB0_17
; %bb.16:
	v_add_u32_e32 v0, 0x400, v37
	ds_read2_b64 v[8:11], v0 offset0:54 offset1:145
	v_add_u32_e32 v0, 0x800, v37
	ds_read2_b64 v[12:15], v0 offset0:108 offset1:199
	v_add_u32_e32 v0, 0x1000, v37
	ds_read2_b64 v[4:7], v37 offset1:91
	ds_read2_b64 v[0:3], v0 offset0:34 offset1:125
.LBB0_17:
	s_or_b64 exec, exec, s[4:5]
	s_waitcnt lgkmcnt(0)
	s_barrier
	s_and_saveexec_b64 s[4:5], vcc
	s_cbranch_execz .LBB0_19
; %bb.18:
	v_add_u32_e32 v16, 0xffffffa5, v32
	v_cndmask_b32_e32 v16, v16, v32, vcc
	v_mul_i32_i24_e32 v16, 7, v16
	v_mov_b32_e32 v17, 0
	v_lshlrev_b64 v[16:17], 3, v[16:17]
	v_mov_b32_e32 v18, s13
	v_add_co_u32_e32 v33, vcc, s12, v16
	v_addc_co_u32_e32 v34, vcc, v18, v17, vcc
	global_load_dwordx4 v[16:19], v[33:34], off offset:640
	global_load_dwordx4 v[20:23], v[33:34], off offset:624
	;; [unrolled: 1-line block ×3, first 2 shown]
	global_load_dwordx2 v[35:36], v[33:34], off offset:672
	s_waitcnt vmcnt(3)
	v_mul_f32_e32 v33, v12, v19
	s_waitcnt vmcnt(2)
	v_mul_f32_e32 v34, v9, v23
	s_waitcnt vmcnt(1)
	v_mul_f32_e32 v38, v1, v27
	v_mul_f32_e32 v39, v6, v21
	v_mul_f32_e32 v40, v14, v25
	v_mul_f32_e32 v41, v11, v17
	s_waitcnt vmcnt(0)
	v_mul_f32_e32 v42, v3, v36
	v_mul_f32_e32 v21, v7, v21
	;; [unrolled: 1-line block ×5, first 2 shown]
	v_fma_f32 v13, v13, v18, -v33
	v_fmac_f32_e32 v34, v8, v22
	v_fmac_f32_e32 v38, v0, v26
	v_mul_f32_e32 v17, v10, v17
	v_mul_f32_e32 v36, v2, v36
	;; [unrolled: 1-line block ×3, first 2 shown]
	v_fma_f32 v0, v7, v20, -v39
	v_fma_f32 v7, v15, v24, -v40
	v_fmac_f32_e32 v41, v10, v16
	v_fmac_f32_e32 v42, v2, v35
	;; [unrolled: 1-line block ×3, first 2 shown]
	v_fma_f32 v6, v9, v22, -v23
	v_fma_f32 v1, v1, v26, -v27
	v_sub_f32_e32 v8, v5, v13
	v_sub_f32_e32 v9, v34, v38
	v_fma_f32 v2, v11, v16, -v17
	v_fma_f32 v3, v3, v35, -v36
	v_fmac_f32_e32 v25, v14, v24
	v_fmac_f32_e32 v19, v12, v18
	v_sub_f32_e32 v7, v0, v7
	v_sub_f32_e32 v10, v41, v42
	;; [unrolled: 1-line block ×8, first 2 shown]
	v_fma_f32 v17, v5, 2.0, -v8
	v_fma_f32 v5, v6, 2.0, -v1
	;; [unrolled: 1-line block ×3, first 2 shown]
	v_add_f32_e32 v15, v11, v3
	v_add_f32_e32 v16, v12, v1
	v_sub_f32_e32 v19, v17, v5
	v_fma_f32 v22, v7, 2.0, -v14
	v_mov_b32_e32 v5, v8
	v_fma_f32 v18, v21, 2.0, -v11
	v_fma_f32 v6, v41, 2.0, -v10
	;; [unrolled: 1-line block ×6, first 2 shown]
	v_mov_b32_e32 v1, v13
	v_fma_f32 v23, v11, 2.0, -v15
	v_fma_f32 v12, v12, 2.0, -v16
	v_fmac_f32_e32 v5, 0xbf3504f3, v22
	v_mov_b32_e32 v0, v16
	v_sub_f32_e32 v20, v18, v6
	v_sub_f32_e32 v6, v10, v4
	;; [unrolled: 1-line block ×3, first 2 shown]
	v_fmac_f32_e32 v1, 0x3f3504f3, v14
	v_mov_b32_e32 v4, v12
	v_fmac_f32_e32 v5, 0xbf3504f3, v23
	v_fmac_f32_e32 v0, 0x3f3504f3, v15
	v_add_f32_e32 v2, v6, v21
	v_fma_f32 v17, v17, 2.0, -v19
	v_fma_f32 v9, v9, 2.0, -v21
	;; [unrolled: 1-line block ×3, first 2 shown]
	v_fmac_f32_e32 v1, 0xbf3504f3, v15
	v_fmac_f32_e32 v4, 0xbf3504f3, v23
	v_fma_f32 v15, v8, 2.0, -v5
	v_fma_f32 v8, v18, 2.0, -v20
	v_sub_f32_e32 v9, v17, v9
	v_fmac_f32_e32 v4, 0x3f3504f3, v22
	v_sub_f32_e32 v8, v21, v8
	v_sub_f32_e32 v3, v19, v20
	v_fmac_f32_e32 v0, 0x3f3504f3, v14
	v_fma_f32 v11, v13, 2.0, -v1
	v_fma_f32 v13, v17, 2.0, -v9
	;; [unrolled: 1-line block ×7, first 2 shown]
	ds_write2_b64 v37, v[12:13], v[14:15] offset1:91
	v_add_u32_e32 v12, 0x400, v37
	ds_write2_b64 v12, v[6:7], v[10:11] offset0:54 offset1:145
	v_add_u32_e32 v6, 0x800, v37
	ds_write2_b64 v6, v[8:9], v[4:5] offset0:108 offset1:199
	v_add_u32_e32 v4, 0x1000, v37
	ds_write2_b64 v4, v[2:3], v[0:1] offset0:34 offset1:125
.LBB0_19:
	s_or_b64 exec, exec, s[4:5]
	s_waitcnt lgkmcnt(0)
	s_barrier
	ds_read_b64 v[2:3], v37
	s_add_u32 s6, s12, 0x1658
	v_lshlrev_b32_e32 v0, 3, v32
	s_addc_u32 s7, s13, 0
	v_sub_u32_e32 v6, 0, v0
	v_cmp_ne_u32_e32 vcc, 0, v32
                                        ; implicit-def: $vgpr1
                                        ; implicit-def: $vgpr7
                                        ; implicit-def: $vgpr4_vgpr5
	s_and_saveexec_b64 s[4:5], vcc
	s_xor_b64 s[4:5], exec, s[4:5]
	s_cbranch_execz .LBB0_21
; %bb.20:
	v_mov_b32_e32 v33, 0
	v_lshlrev_b64 v[0:1], 3, v[32:33]
	v_mov_b32_e32 v4, s7
	v_add_co_u32_e32 v0, vcc, s6, v0
	v_addc_co_u32_e32 v1, vcc, v4, v1, vcc
	global_load_dwordx2 v[0:1], v[0:1], off
	ds_read_b64 v[4:5], v6 offset:5824
	s_waitcnt lgkmcnt(0)
	v_add_f32_e32 v8, v4, v2
	v_sub_f32_e32 v2, v2, v4
	v_add_f32_e32 v7, v5, v3
	v_sub_f32_e32 v3, v3, v5
	v_mul_f32_e32 v2, 0.5, v2
	v_mul_f32_e32 v4, 0.5, v7
	;; [unrolled: 1-line block ×3, first 2 shown]
	s_waitcnt vmcnt(0)
	v_mul_f32_e32 v5, v1, v2
	v_fma_f32 v7, v4, v1, v3
	v_fma_f32 v1, v4, v1, -v3
	v_fma_f32 v3, 0.5, v8, v5
	v_fma_f32 v5, v8, 0.5, -v5
	v_fma_f32 v7, -v0, v2, v7
	v_fma_f32 v1, -v0, v2, v1
	v_fmac_f32_e32 v3, v0, v4
	v_fma_f32 v0, -v0, v4, v5
	v_mov_b32_e32 v4, v32
	ds_write_b32 v37, v3
	v_mov_b32_e32 v5, v33
                                        ; implicit-def: $vgpr2_vgpr3
.LBB0_21:
	s_andn2_saveexec_b64 s[4:5], s[4:5]
	s_cbranch_execz .LBB0_23
; %bb.22:
	v_mov_b32_e32 v7, 0
	ds_read_b32 v1, v7 offset:2916
	v_mov_b32_e32 v4, 0
	s_waitcnt lgkmcnt(1)
	v_add_f32_e32 v8, v2, v3
	v_sub_f32_e32 v0, v2, v3
	v_mov_b32_e32 v5, 0
	s_waitcnt lgkmcnt(0)
	v_xor_b32_e32 v1, 0x80000000, v1
	ds_write_b32 v7, v1 offset:2916
	v_mov_b32_e32 v1, v7
	ds_write_b32 v37, v8
.LBB0_23:
	s_or_b64 exec, exec, s[4:5]
	s_waitcnt lgkmcnt(0)
	v_lshlrev_b64 v[2:3], 3, v[4:5]
	v_mov_b32_e32 v4, s7
	v_add_co_u32_e32 v2, vcc, s6, v2
	v_addc_co_u32_e32 v3, vcc, v4, v3, vcc
	global_load_dwordx2 v[4:5], v[2:3], off offset:832
	global_load_dwordx2 v[8:9], v[2:3], off offset:1664
	ds_write_b32 v37, v7 offset:4
	ds_write_b64 v6, v[0:1] offset:5824
	ds_read_b64 v[0:1], v37 offset:832
	ds_read_b64 v[10:11], v6 offset:4992
	v_cmp_gt_u32_e32 vcc, 52, v32
	s_waitcnt lgkmcnt(0)
	v_add_f32_e32 v7, v0, v10
	v_sub_f32_e32 v0, v0, v10
	v_add_f32_e32 v12, v1, v11
	v_sub_f32_e32 v1, v1, v11
	v_mul_f32_e32 v11, 0.5, v0
	v_mul_f32_e32 v10, 0.5, v12
	;; [unrolled: 1-line block ×3, first 2 shown]
	s_waitcnt vmcnt(1)
	v_mul_f32_e32 v12, v5, v11
	v_fma_f32 v1, v10, v5, v0
	v_fma_f32 v5, v10, v5, -v0
	v_fma_f32 v0, 0.5, v7, v12
	v_fma_f32 v1, -v4, v11, v1
	v_fma_f32 v7, v7, 0.5, -v12
	v_fmac_f32_e32 v0, v4, v10
	v_fma_f32 v5, -v4, v11, v5
	v_fma_f32 v4, -v4, v10, v7
	ds_write_b64 v37, v[0:1] offset:832
	ds_write_b64 v6, v[4:5] offset:4992
	ds_read_b64 v[0:1], v37 offset:1664
	ds_read_b64 v[4:5], v6 offset:4160
	s_waitcnt lgkmcnt(0)
	v_add_f32_e32 v7, v0, v4
	v_sub_f32_e32 v0, v0, v4
	v_add_f32_e32 v10, v1, v5
	v_sub_f32_e32 v1, v1, v5
	v_mul_f32_e32 v5, 0.5, v0
	v_mul_f32_e32 v4, 0.5, v10
	;; [unrolled: 1-line block ×3, first 2 shown]
	s_waitcnt vmcnt(0)
	v_mul_f32_e32 v10, v9, v5
	v_fma_f32 v1, v4, v9, v0
	v_fma_f32 v9, v4, v9, -v0
	v_fma_f32 v0, 0.5, v7, v10
	v_fma_f32 v1, -v8, v5, v1
	v_fma_f32 v7, v7, 0.5, -v10
	v_fmac_f32_e32 v0, v8, v4
	v_fma_f32 v5, -v8, v5, v9
	v_fma_f32 v4, -v8, v4, v7
	ds_write_b64 v37, v[0:1] offset:1664
	ds_write_b64 v6, v[4:5] offset:4160
	s_and_saveexec_b64 s[4:5], vcc
	s_cbranch_execz .LBB0_25
; %bb.24:
	global_load_dwordx2 v[0:1], v[2:3], off offset:2496
	ds_read_b64 v[2:3], v37 offset:2496
	ds_read_b64 v[4:5], v6 offset:3328
	s_waitcnt lgkmcnt(0)
	v_add_f32_e32 v7, v2, v4
	v_sub_f32_e32 v2, v2, v4
	v_add_f32_e32 v8, v3, v5
	v_sub_f32_e32 v3, v3, v5
	v_mul_f32_e32 v4, 0.5, v2
	v_mul_f32_e32 v5, 0.5, v8
	;; [unrolled: 1-line block ×3, first 2 shown]
	s_waitcnt vmcnt(0)
	v_mul_f32_e32 v3, v1, v4
	v_fma_f32 v8, v5, v1, v2
	v_fma_f32 v9, v5, v1, -v2
	v_fma_f32 v1, 0.5, v7, v3
	v_fma_f32 v2, -v0, v4, v8
	v_fma_f32 v3, v7, 0.5, -v3
	v_fmac_f32_e32 v1, v0, v5
	v_fma_f32 v4, -v0, v4, v9
	v_fma_f32 v3, -v0, v5, v3
	ds_write_b64 v37, v[1:2] offset:2496
	ds_write_b64 v6, v[3:4] offset:3328
.LBB0_25:
	s_or_b64 exec, exec, s[4:5]
	s_waitcnt lgkmcnt(0)
	s_barrier
	s_and_saveexec_b64 s[4:5], s[0:1]
	s_cbranch_execz .LBB0_28
; %bb.26:
	v_mul_lo_u32 v2, s3, v30
	v_mul_lo_u32 v3, s2, v31
	v_mad_u64_u32 v[0:1], s[0:1], s2, v30, 0
	v_mov_b32_e32 v6, s11
	v_lshl_add_u32 v8, v32, 3, 0
	v_add3_u32 v1, v1, v3, v2
	v_lshlrev_b64 v[0:1], 3, v[0:1]
	v_mov_b32_e32 v33, 0
	v_add_co_u32_e32 v0, vcc, s10, v0
	v_addc_co_u32_e32 v9, vcc, v6, v1, vcc
	v_lshlrev_b64 v[6:7], 3, v[28:29]
	ds_read2_b64 v[2:5], v8 offset1:104
	v_add_co_u32_e32 v1, vcc, v0, v6
	v_addc_co_u32_e32 v0, vcc, v9, v7, vcc
	v_lshlrev_b64 v[6:7], 3, v[32:33]
	s_movk_i32 s0, 0x67
	v_add_co_u32_e32 v6, vcc, v1, v6
	v_addc_co_u32_e32 v7, vcc, v0, v7, vcc
	s_waitcnt lgkmcnt(0)
	global_store_dwordx2 v[6:7], v[2:3], off
	v_add_u32_e32 v2, 0x68, v32
	v_mov_b32_e32 v3, v33
	v_lshlrev_b64 v[2:3], 3, v[2:3]
	v_add_u32_e32 v6, 0xd0, v32
	v_add_co_u32_e32 v2, vcc, v1, v2
	v_addc_co_u32_e32 v3, vcc, v0, v3, vcc
	global_store_dwordx2 v[2:3], v[4:5], off
	v_add_u32_e32 v2, 0x400, v8
	v_mov_b32_e32 v7, v33
	ds_read2_b64 v[2:5], v2 offset0:80 offset1:184
	v_lshlrev_b64 v[6:7], 3, v[6:7]
	v_add_co_u32_e32 v6, vcc, v1, v6
	v_addc_co_u32_e32 v7, vcc, v0, v7, vcc
	s_waitcnt lgkmcnt(0)
	global_store_dwordx2 v[6:7], v[2:3], off
	v_add_u32_e32 v2, 0x138, v32
	v_mov_b32_e32 v3, v33
	v_lshlrev_b64 v[2:3], 3, v[2:3]
	v_add_u32_e32 v6, 0x1a0, v32
	v_add_co_u32_e32 v2, vcc, v1, v2
	v_addc_co_u32_e32 v3, vcc, v0, v3, vcc
	global_store_dwordx2 v[2:3], v[4:5], off
	v_add_u32_e32 v2, 0xc00, v8
	v_mov_b32_e32 v7, v33
	ds_read2_b64 v[2:5], v2 offset0:32 offset1:136
	v_lshlrev_b64 v[6:7], 3, v[6:7]
	v_add_co_u32_e32 v6, vcc, v1, v6
	v_addc_co_u32_e32 v7, vcc, v0, v7, vcc
	s_waitcnt lgkmcnt(0)
	global_store_dwordx2 v[6:7], v[2:3], off
	v_add_u32_e32 v2, 0x208, v32
	v_mov_b32_e32 v3, v33
	v_lshlrev_b64 v[2:3], 3, v[2:3]
	v_add_co_u32_e32 v2, vcc, v1, v2
	v_addc_co_u32_e32 v3, vcc, v0, v3, vcc
	global_store_dwordx2 v[2:3], v[4:5], off
	v_add_u32_e32 v2, 0x270, v32
	v_mov_b32_e32 v3, v33
	ds_read_b64 v[4:5], v8 offset:4992
	v_lshlrev_b64 v[2:3], 3, v[2:3]
	v_add_co_u32_e32 v2, vcc, v1, v2
	v_addc_co_u32_e32 v3, vcc, v0, v3, vcc
	v_cmp_eq_u32_e32 vcc, s0, v32
	s_waitcnt lgkmcnt(0)
	global_store_dwordx2 v[2:3], v[4:5], off
	s_and_b64 exec, exec, vcc
	s_cbranch_execz .LBB0_28
; %bb.27:
	ds_read_b64 v[2:3], v33 offset:5824
	v_add_co_u32_e32 v4, vcc, 0x1000, v1
	v_addc_co_u32_e32 v5, vcc, 0, v0, vcc
	s_waitcnt lgkmcnt(0)
	global_store_dwordx2 v[4:5], v[2:3], off offset:1728
.LBB0_28:
	s_endpgm
	.section	.rodata,"a",@progbits
	.p2align	6, 0x0
	.amdhsa_kernel fft_rtc_back_len728_factors_13_7_8_wgs_104_tpt_104_halfLds_sp_op_CI_CI_unitstride_sbrr_R2C_dirReg
		.amdhsa_group_segment_fixed_size 0
		.amdhsa_private_segment_fixed_size 0
		.amdhsa_kernarg_size 104
		.amdhsa_user_sgpr_count 6
		.amdhsa_user_sgpr_private_segment_buffer 1
		.amdhsa_user_sgpr_dispatch_ptr 0
		.amdhsa_user_sgpr_queue_ptr 0
		.amdhsa_user_sgpr_kernarg_segment_ptr 1
		.amdhsa_user_sgpr_dispatch_id 0
		.amdhsa_user_sgpr_flat_scratch_init 0
		.amdhsa_user_sgpr_private_segment_size 0
		.amdhsa_uses_dynamic_stack 0
		.amdhsa_system_sgpr_private_segment_wavefront_offset 0
		.amdhsa_system_sgpr_workgroup_id_x 1
		.amdhsa_system_sgpr_workgroup_id_y 0
		.amdhsa_system_sgpr_workgroup_id_z 0
		.amdhsa_system_sgpr_workgroup_info 0
		.amdhsa_system_vgpr_workitem_id 0
		.amdhsa_next_free_vgpr 98
		.amdhsa_next_free_sgpr 28
		.amdhsa_reserve_vcc 1
		.amdhsa_reserve_flat_scratch 0
		.amdhsa_float_round_mode_32 0
		.amdhsa_float_round_mode_16_64 0
		.amdhsa_float_denorm_mode_32 3
		.amdhsa_float_denorm_mode_16_64 3
		.amdhsa_dx10_clamp 1
		.amdhsa_ieee_mode 1
		.amdhsa_fp16_overflow 0
		.amdhsa_exception_fp_ieee_invalid_op 0
		.amdhsa_exception_fp_denorm_src 0
		.amdhsa_exception_fp_ieee_div_zero 0
		.amdhsa_exception_fp_ieee_overflow 0
		.amdhsa_exception_fp_ieee_underflow 0
		.amdhsa_exception_fp_ieee_inexact 0
		.amdhsa_exception_int_div_zero 0
	.end_amdhsa_kernel
	.text
.Lfunc_end0:
	.size	fft_rtc_back_len728_factors_13_7_8_wgs_104_tpt_104_halfLds_sp_op_CI_CI_unitstride_sbrr_R2C_dirReg, .Lfunc_end0-fft_rtc_back_len728_factors_13_7_8_wgs_104_tpt_104_halfLds_sp_op_CI_CI_unitstride_sbrr_R2C_dirReg
                                        ; -- End function
	.section	.AMDGPU.csdata,"",@progbits
; Kernel info:
; codeLenInByte = 7220
; NumSgprs: 32
; NumVgprs: 98
; ScratchSize: 0
; MemoryBound: 0
; FloatMode: 240
; IeeeMode: 1
; LDSByteSize: 0 bytes/workgroup (compile time only)
; SGPRBlocks: 3
; VGPRBlocks: 24
; NumSGPRsForWavesPerEU: 32
; NumVGPRsForWavesPerEU: 98
; Occupancy: 2
; WaveLimiterHint : 1
; COMPUTE_PGM_RSRC2:SCRATCH_EN: 0
; COMPUTE_PGM_RSRC2:USER_SGPR: 6
; COMPUTE_PGM_RSRC2:TRAP_HANDLER: 0
; COMPUTE_PGM_RSRC2:TGID_X_EN: 1
; COMPUTE_PGM_RSRC2:TGID_Y_EN: 0
; COMPUTE_PGM_RSRC2:TGID_Z_EN: 0
; COMPUTE_PGM_RSRC2:TIDIG_COMP_CNT: 0
	.type	__hip_cuid_6b5bbd65606aefb2,@object ; @__hip_cuid_6b5bbd65606aefb2
	.section	.bss,"aw",@nobits
	.globl	__hip_cuid_6b5bbd65606aefb2
__hip_cuid_6b5bbd65606aefb2:
	.byte	0                               ; 0x0
	.size	__hip_cuid_6b5bbd65606aefb2, 1

	.ident	"AMD clang version 19.0.0git (https://github.com/RadeonOpenCompute/llvm-project roc-6.4.0 25133 c7fe45cf4b819c5991fe208aaa96edf142730f1d)"
	.section	".note.GNU-stack","",@progbits
	.addrsig
	.addrsig_sym __hip_cuid_6b5bbd65606aefb2
	.amdgpu_metadata
---
amdhsa.kernels:
  - .args:
      - .actual_access:  read_only
        .address_space:  global
        .offset:         0
        .size:           8
        .value_kind:     global_buffer
      - .offset:         8
        .size:           8
        .value_kind:     by_value
      - .actual_access:  read_only
        .address_space:  global
        .offset:         16
        .size:           8
        .value_kind:     global_buffer
      - .actual_access:  read_only
        .address_space:  global
        .offset:         24
        .size:           8
        .value_kind:     global_buffer
      - .actual_access:  read_only
        .address_space:  global
        .offset:         32
        .size:           8
        .value_kind:     global_buffer
      - .offset:         40
        .size:           8
        .value_kind:     by_value
      - .actual_access:  read_only
        .address_space:  global
        .offset:         48
        .size:           8
        .value_kind:     global_buffer
      - .actual_access:  read_only
        .address_space:  global
        .offset:         56
        .size:           8
        .value_kind:     global_buffer
      - .offset:         64
        .size:           4
        .value_kind:     by_value
      - .actual_access:  read_only
        .address_space:  global
        .offset:         72
        .size:           8
        .value_kind:     global_buffer
      - .actual_access:  read_only
        .address_space:  global
        .offset:         80
        .size:           8
        .value_kind:     global_buffer
      - .actual_access:  read_only
        .address_space:  global
        .offset:         88
        .size:           8
        .value_kind:     global_buffer
      - .actual_access:  write_only
        .address_space:  global
        .offset:         96
        .size:           8
        .value_kind:     global_buffer
    .group_segment_fixed_size: 0
    .kernarg_segment_align: 8
    .kernarg_segment_size: 104
    .language:       OpenCL C
    .language_version:
      - 2
      - 0
    .max_flat_workgroup_size: 104
    .name:           fft_rtc_back_len728_factors_13_7_8_wgs_104_tpt_104_halfLds_sp_op_CI_CI_unitstride_sbrr_R2C_dirReg
    .private_segment_fixed_size: 0
    .sgpr_count:     32
    .sgpr_spill_count: 0
    .symbol:         fft_rtc_back_len728_factors_13_7_8_wgs_104_tpt_104_halfLds_sp_op_CI_CI_unitstride_sbrr_R2C_dirReg.kd
    .uniform_work_group_size: 1
    .uses_dynamic_stack: false
    .vgpr_count:     98
    .vgpr_spill_count: 0
    .wavefront_size: 64
amdhsa.target:   amdgcn-amd-amdhsa--gfx906
amdhsa.version:
  - 1
  - 2
...

	.end_amdgpu_metadata
